;; amdgpu-corpus repo=ROCm/rocFFT kind=compiled arch=gfx950 opt=O3
	.text
	.amdgcn_target "amdgcn-amd-amdhsa--gfx950"
	.amdhsa_code_object_version 6
	.protected	fft_rtc_fwd_len704_factors_2_2_2_2_11_2_2_wgs_176_tpt_88_halfLds_sp_op_CI_CI_unitstride_sbrr_C2R_dirReg ; -- Begin function fft_rtc_fwd_len704_factors_2_2_2_2_11_2_2_wgs_176_tpt_88_halfLds_sp_op_CI_CI_unitstride_sbrr_C2R_dirReg
	.globl	fft_rtc_fwd_len704_factors_2_2_2_2_11_2_2_wgs_176_tpt_88_halfLds_sp_op_CI_CI_unitstride_sbrr_C2R_dirReg
	.p2align	8
	.type	fft_rtc_fwd_len704_factors_2_2_2_2_11_2_2_wgs_176_tpt_88_halfLds_sp_op_CI_CI_unitstride_sbrr_C2R_dirReg,@function
fft_rtc_fwd_len704_factors_2_2_2_2_11_2_2_wgs_176_tpt_88_halfLds_sp_op_CI_CI_unitstride_sbrr_C2R_dirReg: ; @fft_rtc_fwd_len704_factors_2_2_2_2_11_2_2_wgs_176_tpt_88_halfLds_sp_op_CI_CI_unitstride_sbrr_C2R_dirReg
; %bb.0:
	s_load_dwordx4 s[4:7], s[0:1], 0x58
	s_load_dwordx4 s[8:11], s[0:1], 0x0
	;; [unrolled: 1-line block ×3, first 2 shown]
	v_mul_u32_u24_e32 v1, 0x2e9, v0
	v_lshrrev_b32_e32 v1, 16, v1
	v_lshl_add_u32 v6, s2, 1, v1
	v_mov_b32_e32 v4, 0
	s_waitcnt lgkmcnt(0)
	v_cmp_lt_u64_e64 s[2:3], s[10:11], 2
	v_mov_b32_e32 v7, v4
	s_and_b64 vcc, exec, s[2:3]
	v_mov_b64_e32 v[2:3], 0
	s_cbranch_vccnz .LBB0_8
; %bb.1:
	s_load_dwordx2 s[2:3], s[0:1], 0x10
	s_add_u32 s16, s14, 8
	s_addc_u32 s17, s15, 0
	s_add_u32 s18, s12, 8
	s_addc_u32 s19, s13, 0
	s_waitcnt lgkmcnt(0)
	s_add_u32 s20, s2, 8
	v_mov_b64_e32 v[2:3], 0
	s_addc_u32 s21, s3, 0
	s_mov_b64 s[22:23], 1
	v_mov_b64_e32 v[20:21], v[2:3]
.LBB0_2:                                ; =>This Inner Loop Header: Depth=1
	s_load_dwordx2 s[24:25], s[20:21], 0x0
                                        ; implicit-def: $vgpr22_vgpr23
	s_waitcnt lgkmcnt(0)
	v_or_b32_e32 v5, s25, v7
	v_cmp_ne_u64_e32 vcc, 0, v[4:5]
	s_and_saveexec_b64 s[2:3], vcc
	s_xor_b64 s[26:27], exec, s[2:3]
	s_cbranch_execz .LBB0_4
; %bb.3:                                ;   in Loop: Header=BB0_2 Depth=1
	v_cvt_f32_u32_e32 v5, s24
	v_cvt_f32_u32_e32 v8, s25
	s_sub_u32 s2, 0, s24
	s_subb_u32 s3, 0, s25
	v_fmac_f32_e32 v5, 0x4f800000, v8
	v_rcp_f32_e32 v5, v5
	s_nop 0
	v_mul_f32_e32 v5, 0x5f7ffffc, v5
	v_mul_f32_e32 v8, 0x2f800000, v5
	v_trunc_f32_e32 v8, v8
	v_fmac_f32_e32 v5, 0xcf800000, v8
	v_cvt_u32_f32_e32 v12, v8
	v_cvt_u32_f32_e32 v5, v5
	v_mul_lo_u32 v8, s2, v12
	v_mul_hi_u32 v10, s2, v5
	v_mul_lo_u32 v9, s3, v5
	v_add_u32_e32 v10, v10, v8
	v_mul_lo_u32 v13, s2, v5
	v_add_u32_e32 v14, v10, v9
	v_mul_hi_u32 v8, v5, v13
	v_mul_hi_u32 v11, v5, v14
	v_mul_lo_u32 v10, v5, v14
	v_mov_b32_e32 v9, v4
	v_lshl_add_u64 v[8:9], v[8:9], 0, v[10:11]
	v_mul_hi_u32 v11, v12, v13
	v_mul_lo_u32 v13, v12, v13
	v_add_co_u32_e32 v8, vcc, v8, v13
	v_mul_hi_u32 v10, v12, v14
	s_nop 0
	v_addc_co_u32_e32 v8, vcc, v9, v11, vcc
	v_mov_b32_e32 v9, v4
	s_nop 0
	v_addc_co_u32_e32 v11, vcc, 0, v10, vcc
	v_mul_lo_u32 v10, v12, v14
	v_lshl_add_u64 v[8:9], v[8:9], 0, v[10:11]
	v_add_co_u32_e32 v5, vcc, v5, v8
	v_mul_lo_u32 v10, s2, v5
	s_nop 0
	v_addc_co_u32_e32 v12, vcc, v12, v9, vcc
	v_mul_lo_u32 v8, s2, v12
	v_mul_hi_u32 v9, s2, v5
	v_add_u32_e32 v8, v9, v8
	v_mul_lo_u32 v9, s3, v5
	v_add_u32_e32 v13, v8, v9
	v_mul_hi_u32 v15, v12, v10
	v_mul_lo_u32 v16, v12, v10
	v_mul_hi_u32 v9, v5, v13
	v_mul_lo_u32 v8, v5, v13
	v_mul_hi_u32 v10, v5, v10
	v_mov_b32_e32 v11, v4
	v_lshl_add_u64 v[8:9], v[10:11], 0, v[8:9]
	v_add_co_u32_e32 v8, vcc, v8, v16
	v_mul_hi_u32 v14, v12, v13
	s_nop 0
	v_addc_co_u32_e32 v8, vcc, v9, v15, vcc
	v_mul_lo_u32 v10, v12, v13
	s_nop 0
	v_addc_co_u32_e32 v11, vcc, 0, v14, vcc
	v_mov_b32_e32 v9, v4
	v_lshl_add_u64 v[8:9], v[8:9], 0, v[10:11]
	v_add_co_u32_e32 v5, vcc, v5, v8
	v_mul_hi_u32 v10, v6, v5
	s_nop 0
	v_addc_co_u32_e32 v12, vcc, v12, v9, vcc
	v_mad_u64_u32 v[8:9], s[2:3], v6, v12, 0
	v_mov_b32_e32 v11, v4
	v_lshl_add_u64 v[8:9], v[10:11], 0, v[8:9]
	v_mad_u64_u32 v[10:11], s[2:3], v7, v12, 0
	v_mad_u64_u32 v[12:13], s[2:3], v7, v5, 0
	v_add_co_u32_e32 v5, vcc, v8, v12
	s_nop 1
	v_addc_co_u32_e32 v8, vcc, v9, v13, vcc
	v_mov_b32_e32 v9, v4
	s_nop 0
	v_addc_co_u32_e32 v11, vcc, 0, v11, vcc
	v_lshl_add_u64 v[8:9], v[8:9], 0, v[10:11]
	v_mul_lo_u32 v5, s25, v8
	v_mul_lo_u32 v12, s24, v9
	v_mad_u64_u32 v[10:11], s[2:3], s24, v8, 0
	v_add3_u32 v5, v11, v12, v5
	v_sub_u32_e32 v11, v7, v5
	v_mov_b32_e32 v12, s25
	v_sub_co_u32_e32 v14, vcc, v6, v10
	s_nop 1
	v_subb_co_u32_e64 v10, s[2:3], v11, v12, vcc
	v_subrev_co_u32_e64 v11, s[2:3], s24, v14
	v_subb_co_u32_e32 v5, vcc, v7, v5, vcc
	s_nop 0
	v_subbrev_co_u32_e64 v10, s[2:3], 0, v10, s[2:3]
	v_cmp_le_u32_e64 s[2:3], s25, v10
	v_cmp_le_u32_e32 vcc, s25, v5
	s_nop 0
	v_cndmask_b32_e64 v12, 0, -1, s[2:3]
	v_cmp_le_u32_e64 s[2:3], s24, v11
	s_nop 1
	v_cndmask_b32_e64 v11, 0, -1, s[2:3]
	v_cmp_eq_u32_e64 s[2:3], s25, v10
	s_nop 1
	v_cndmask_b32_e64 v15, v12, v11, s[2:3]
	v_lshl_add_u64 v[10:11], v[8:9], 0, 2
	v_lshl_add_u64 v[12:13], v[8:9], 0, 1
	v_cmp_ne_u32_e64 s[2:3], 0, v15
	s_nop 1
	v_cndmask_b32_e64 v11, v13, v11, s[2:3]
	v_cndmask_b32_e64 v13, 0, -1, vcc
	v_cmp_le_u32_e32 vcc, s24, v14
	s_nop 1
	v_cndmask_b32_e64 v14, 0, -1, vcc
	v_cmp_eq_u32_e32 vcc, s25, v5
	s_nop 1
	v_cndmask_b32_e32 v5, v13, v14, vcc
	v_cmp_ne_u32_e32 vcc, 0, v5
	v_cndmask_b32_e64 v5, v12, v10, s[2:3]
	s_nop 0
	v_cndmask_b32_e32 v23, v9, v11, vcc
	v_cndmask_b32_e32 v22, v8, v5, vcc
.LBB0_4:                                ;   in Loop: Header=BB0_2 Depth=1
	s_andn2_saveexec_b64 s[2:3], s[26:27]
	s_cbranch_execz .LBB0_6
; %bb.5:                                ;   in Loop: Header=BB0_2 Depth=1
	v_cvt_f32_u32_e32 v5, s24
	s_sub_i32 s26, 0, s24
	v_mov_b32_e32 v23, v4
	v_rcp_iflag_f32_e32 v5, v5
	s_nop 0
	v_mul_f32_e32 v5, 0x4f7ffffe, v5
	v_cvt_u32_f32_e32 v5, v5
	v_mul_lo_u32 v8, s26, v5
	v_mul_hi_u32 v8, v5, v8
	v_add_u32_e32 v5, v5, v8
	v_mul_hi_u32 v5, v6, v5
	v_mul_lo_u32 v8, v5, s24
	v_sub_u32_e32 v8, v6, v8
	v_add_u32_e32 v9, 1, v5
	v_subrev_u32_e32 v10, s24, v8
	v_cmp_le_u32_e32 vcc, s24, v8
	s_nop 1
	v_cndmask_b32_e32 v8, v8, v10, vcc
	v_cndmask_b32_e32 v5, v5, v9, vcc
	v_add_u32_e32 v9, 1, v5
	v_cmp_le_u32_e32 vcc, s24, v8
	s_nop 1
	v_cndmask_b32_e32 v22, v5, v9, vcc
.LBB0_6:                                ;   in Loop: Header=BB0_2 Depth=1
	s_or_b64 exec, exec, s[2:3]
	v_mad_u64_u32 v[8:9], s[2:3], v22, s24, 0
	s_load_dwordx2 s[2:3], s[18:19], 0x0
	v_mul_lo_u32 v5, v23, s24
	v_mul_lo_u32 v10, v22, s25
	s_load_dwordx2 s[24:25], s[16:17], 0x0
	s_add_u32 s22, s22, 1
	v_add3_u32 v5, v9, v10, v5
	v_sub_co_u32_e32 v6, vcc, v6, v8
	s_addc_u32 s23, s23, 0
	s_nop 0
	v_subb_co_u32_e32 v5, vcc, v7, v5, vcc
	s_add_u32 s16, s16, 8
	s_waitcnt lgkmcnt(0)
	v_mul_lo_u32 v7, s2, v5
	v_mul_lo_u32 v8, s3, v6
	v_mad_u64_u32 v[2:3], s[2:3], s2, v6, v[2:3]
	s_addc_u32 s17, s17, 0
	v_add3_u32 v3, v8, v3, v7
	v_mul_lo_u32 v5, s24, v5
	v_mul_lo_u32 v7, s25, v6
	v_mad_u64_u32 v[20:21], s[2:3], s24, v6, v[20:21]
	s_add_u32 s18, s18, 8
	v_add3_u32 v21, v7, v21, v5
	s_addc_u32 s19, s19, 0
	v_mov_b64_e32 v[6:7], s[10:11]
	s_add_u32 s20, s20, 8
	v_cmp_ge_u64_e32 vcc, s[22:23], v[6:7]
	s_addc_u32 s21, s21, 0
	s_cbranch_vccnz .LBB0_9
; %bb.7:                                ;   in Loop: Header=BB0_2 Depth=1
	v_mov_b64_e32 v[6:7], v[22:23]
	s_branch .LBB0_2
.LBB0_8:
	v_mov_b64_e32 v[20:21], v[2:3]
	v_mov_b64_e32 v[22:23], v[6:7]
.LBB0_9:
	s_load_dwordx2 s[2:3], s[0:1], 0x28
	s_lshl_b64 s[16:17], s[10:11], 3
	s_add_u32 s14, s14, s16
	v_and_b32_e32 v1, 1, v1
	s_addc_u32 s15, s15, s17
	v_cmp_eq_u32_e32 vcc, 1, v1
	v_mov_b32_e32 v1, 0x2c1
	s_waitcnt lgkmcnt(0)
	v_cmp_gt_u64_e64 s[0:1], s[2:3], v[22:23]
	v_cmp_le_u64_e64 s[2:3], s[2:3], v[22:23]
                                        ; implicit-def: $vgpr24
                                        ; implicit-def: $vgpr26_vgpr27
	s_and_saveexec_b64 s[10:11], s[2:3]
	s_xor_b64 s[2:3], exec, s[10:11]
; %bb.10:
	s_mov_b32 s10, 0x2e8ba2f
	v_mul_hi_u32 v2, v0, s10
	v_mul_u32_u24_e32 v2, 0x58, v2
	v_sub_u32_e32 v24, v0, v2
	v_mov_b32_e32 v25, 0
	v_mov_b64_e32 v[26:27], v[24:25]
                                        ; implicit-def: $vgpr0
                                        ; implicit-def: $vgpr2_vgpr3
; %bb.11:
	s_or_saveexec_b64 s[10:11], s[2:3]
	s_load_dwordx2 s[2:3], s[14:15], 0x0
	v_cndmask_b32_e32 v41, 0, v1, vcc
	v_lshlrev_b32_e32 v32, 3, v41
	s_xor_b64 exec, exec, s[10:11]
	s_cbranch_execz .LBB0_15
; %bb.12:
	s_add_u32 s12, s12, s16
	s_addc_u32 s13, s13, s17
	s_load_dwordx2 s[12:13], s[12:13], 0x0
	s_mov_b32 s14, 0x2e8ba2f
	v_mov_b32_e32 v25, 0
	s_waitcnt lgkmcnt(0)
	v_mul_lo_u32 v1, s13, v22
	v_mul_lo_u32 v6, s12, v23
	v_mad_u64_u32 v[4:5], s[12:13], s12, v22, 0
	v_add3_u32 v5, v5, v6, v1
	v_mul_hi_u32 v1, v0, s14
	v_mul_u32_u24_e32 v1, 0x58, v1
	v_sub_u32_e32 v24, v0, v1
	v_lshl_add_u64 v[0:1], v[4:5], 3, s[4:5]
	v_lshl_add_u64 v[0:1], v[2:3], 3, v[0:1]
	v_lshlrev_b32_e32 v2, 3, v24
	v_mov_b32_e32 v3, v25
	v_lshl_add_u64 v[4:5], v[0:1], 0, v[2:3]
	v_add_co_u32_e32 v14, vcc, 0x1000, v4
	global_load_dwordx2 v[6:7], v[4:5], off
	global_load_dwordx2 v[8:9], v[4:5], off offset:704
	global_load_dwordx2 v[10:11], v[4:5], off offset:1408
	;; [unrolled: 1-line block ×3, first 2 shown]
	v_addc_co_u32_e32 v15, vcc, 0, v5, vcc
	global_load_dwordx2 v[16:17], v[4:5], off offset:2816
	global_load_dwordx2 v[18:19], v[4:5], off offset:3520
	global_load_dwordx2 v[26:27], v[14:15], off offset:128
	global_load_dwordx2 v[28:29], v[14:15], off offset:832
	s_movk_i32 s4, 0x57
	v_add3_u32 v2, 0, v32, v2
	v_cmp_eq_u32_e32 vcc, s4, v24
	v_add_u32_e32 v3, 0x400, v2
	v_add_u32_e32 v4, 0x800, v2
	;; [unrolled: 1-line block ×3, first 2 shown]
	s_waitcnt vmcnt(6)
	ds_write2_b64 v2, v[6:7], v[8:9] offset1:88
	s_waitcnt vmcnt(4)
	ds_write2_b64 v3, v[10:11], v[12:13] offset0:48 offset1:136
	s_waitcnt vmcnt(2)
	ds_write2_b64 v4, v[16:17], v[18:19] offset0:96 offset1:184
	;; [unrolled: 2-line block ×3, first 2 shown]
	v_mov_b64_e32 v[26:27], v[24:25]
	s_and_saveexec_b64 s[4:5], vcc
	s_cbranch_execz .LBB0_14
; %bb.13:
	v_add_co_u32_e32 v0, vcc, 0x1000, v0
	v_mov_b32_e32 v24, 0x57
	s_nop 0
	v_addc_co_u32_e32 v1, vcc, 0, v1, vcc
	global_load_dwordx2 v[0:1], v[0:1], off offset:1536
	v_mov_b64_e32 v[26:27], 0x57
	s_waitcnt vmcnt(0)
	ds_write_b64 v2, v[0:1] offset:4936
.LBB0_14:
	s_or_b64 exec, exec, s[4:5]
.LBB0_15:
	s_or_b64 exec, exec, s[10:11]
	v_lshl_add_u32 v40, v41, 3, 0
	v_lshlrev_b32_e32 v43, 3, v24
	v_add_u32_e32 v42, v40, v43
	s_waitcnt lgkmcnt(0)
	s_barrier
	v_sub_u32_e32 v2, v40, v43
	ds_read_b32 v1, v42
	ds_read_b32 v3, v2 offset:5632
	s_add_u32 s4, s8, 0x15f0
	s_addc_u32 s5, s9, 0
	v_cmp_ne_u32_e32 vcc, 0, v24
	s_waitcnt lgkmcnt(0)
	v_add_f32_e32 v0, v3, v1
	v_sub_f32_e32 v1, v1, v3
	s_and_saveexec_b64 s[10:11], vcc
	s_xor_b64 s[10:11], exec, s[10:11]
	s_cbranch_execz .LBB0_17
; %bb.16:
	v_lshl_add_u64 v[4:5], v[26:27], 3, s[4:5]
	global_load_dwordx2 v[4:5], v[4:5], off
	ds_read_b32 v3, v2 offset:5636
	ds_read_b32 v9, v42 offset:4
	v_mov_b32_e32 v6, v1
	v_mov_b32_e32 v8, v0
	;; [unrolled: 1-line block ×3, first 2 shown]
	s_waitcnt lgkmcnt(0)
	v_add_f32_e32 v7, v3, v9
	v_sub_f32_e32 v9, v9, v3
	v_mov_b32_e32 v10, v7
	s_waitcnt vmcnt(0)
	v_pk_mul_f32 v[12:13], v[6:7], v[4:5] op_sel:[0,1]
	v_pk_fma_f32 v[6:7], v[6:7], v[4:5], v[8:9] op_sel:[0,1,0]
	v_mov_b32_e32 v1, v13
	v_mov_b32_e32 v13, v9
	v_pk_fma_f32 v[14:15], v[4:5], v[10:11], v[6:7] neg_lo:[1,0,0] neg_hi:[1,0,0]
	v_pk_fma_f32 v[6:7], v[4:5], v[10:11], v[6:7] op_sel_hi:[0,1,1]
	v_pk_add_f32 v[0:1], v[0:1], v[12:13] neg_lo:[0,1] neg_hi:[0,1]
	v_mov_b32_e32 v15, v7
	v_pk_fma_f32 v[0:1], v[4:5], v[10:11], v[0:1] op_sel_hi:[0,1,1]
	ds_write_b64 v2, v[0:1] offset:5632
	v_mov_b64_e32 v[0:1], v[14:15]
.LBB0_17:
	s_andn2_saveexec_b64 s[10:11], s[10:11]
	s_cbranch_execz .LBB0_19
; %bb.18:
	ds_read_b64 v[4:5], v40 offset:2816
	s_mov_b32 s12, 2.0
	s_mov_b32 s13, -2.0
	s_waitcnt lgkmcnt(0)
	v_pk_mul_f32 v[4:5], v[4:5], s[12:13]
	ds_write_b64 v40, v[4:5] offset:2816
.LBB0_19:
	s_or_b64 exec, exec, s[10:11]
	v_mov_b32_e32 v25, 0
	v_lshl_add_u64 v[4:5], v[24:25], 3, s[4:5]
	global_load_dwordx2 v[6:7], v[4:5], off offset:704
	global_load_dwordx2 v[8:9], v[4:5], off offset:1408
	;; [unrolled: 1-line block ×3, first 2 shown]
	ds_write_b64 v42, v[0:1]
	ds_read_b64 v[0:1], v2 offset:4928
	ds_read_b64 v[4:5], v42 offset:704
	v_add_u32_e32 v3, 0, v43
	v_add_u32_e32 v18, 0x58, v24
	;; [unrolled: 1-line block ×4, first 2 shown]
	s_waitcnt lgkmcnt(0)
	v_pk_add_f32 v[12:13], v[4:5], v[0:1]
	v_pk_add_f32 v[0:1], v[4:5], v[0:1] neg_lo:[0,1] neg_hi:[0,1]
	v_mov_b32_e32 v4, v13
	v_mov_b32_e32 v5, v0
	;; [unrolled: 1-line block ×3, first 2 shown]
	v_lshlrev_b32_e32 v3, 4, v18
	v_add_u32_e32 v33, 0x800, v44
	v_add3_u32 v34, 0, v3, v32
	v_add_u32_e32 v35, 0xc00, v44
	v_add_u32_e32 v19, 0xb0, v24
	;; [unrolled: 1-line block ×3, first 2 shown]
	v_and_b32_e32 v29, 1, v24
	v_lshlrev_b32_e32 v30, 4, v19
	v_add_u32_e32 v31, v45, v32
	v_add3_u32 v30, 0, v30, v32
	v_lshlrev_b32_e32 v46, 1, v24
	s_movk_i32 s4, 0xfc
	s_movk_i32 s5, 0x1fc
	;; [unrolled: 1-line block ×3, first 2 shown]
	v_lshlrev_b32_e32 v47, 1, v18
	v_lshlrev_b32_e32 v48, 1, v19
	v_lshlrev_b32_e32 v49, 1, v28
	v_and_b32_e32 v38, 3, v24
	v_lshlrev_b32_e32 v39, 3, v38
	v_cmp_gt_u32_e32 vcc, 64, v24
	s_waitcnt vmcnt(2)
	v_pk_mul_f32 v[14:15], v[4:5], v[6:7] op_sel:[0,1]
	s_nop 0
	v_pk_add_f32 v[16:17], v[12:13], v[14:15] op_sel:[0,1] op_sel_hi:[1,0]
	v_mov_b32_e32 v13, v14
	v_mov_b32_e32 v0, v15
	v_pk_fma_f32 v[14:15], v[6:7], v[4:5], v[16:17] neg_lo:[1,0,0] neg_hi:[1,0,0]
	v_pk_fma_f32 v[16:17], v[6:7], v[4:5], v[16:17] op_sel_hi:[0,1,1]
	v_pk_add_f32 v[0:1], v[12:13], v[0:1] neg_lo:[0,1] neg_hi:[0,1]
	v_mov_b32_e32 v15, v17
	v_pk_fma_f32 v[0:1], v[6:7], v[4:5], v[0:1] op_sel_hi:[0,1,1]
	ds_write_b64 v42, v[14:15] offset:704
	ds_write_b64 v2, v[0:1] offset:4928
	ds_read_b64 v[0:1], v2 offset:4224
	ds_read_b64 v[4:5], v42 offset:1408
	v_lshlrev_b32_e32 v16, 4, v28
	v_lshlrev_b32_e32 v17, 3, v29
	v_add3_u32 v16, 0, v16, v32
	s_waitcnt lgkmcnt(0)
	v_pk_add_f32 v[6:7], v[4:5], v[0:1]
	v_pk_add_f32 v[0:1], v[4:5], v[0:1] neg_lo:[0,1] neg_hi:[0,1]
	v_mov_b32_e32 v4, v7
	v_mov_b32_e32 v5, v0
	;; [unrolled: 1-line block ×3, first 2 shown]
	s_waitcnt vmcnt(1)
	v_pk_mul_f32 v[12:13], v[4:5], v[8:9] op_sel:[0,1]
	s_nop 0
	v_pk_add_f32 v[14:15], v[6:7], v[12:13] op_sel:[0,1] op_sel_hi:[1,0]
	v_mov_b32_e32 v7, v12
	v_mov_b32_e32 v0, v13
	v_pk_fma_f32 v[12:13], v[8:9], v[4:5], v[14:15] neg_lo:[1,0,0] neg_hi:[1,0,0]
	v_pk_fma_f32 v[14:15], v[8:9], v[4:5], v[14:15] op_sel_hi:[0,1,1]
	v_pk_add_f32 v[0:1], v[6:7], v[0:1] neg_lo:[0,1] neg_hi:[0,1]
	v_mov_b32_e32 v13, v15
	v_pk_fma_f32 v[0:1], v[8:9], v[4:5], v[0:1] op_sel_hi:[0,1,1]
	ds_write_b64 v42, v[12:13] offset:1408
	ds_write_b64 v2, v[0:1] offset:4224
	ds_read_b64 v[0:1], v2 offset:3520
	ds_read_b64 v[4:5], v42 offset:2112
	s_waitcnt lgkmcnt(0)
	v_pk_add_f32 v[6:7], v[4:5], v[0:1]
	v_pk_add_f32 v[0:1], v[4:5], v[0:1] neg_lo:[0,1] neg_hi:[0,1]
	v_mov_b32_e32 v4, v7
	v_mov_b32_e32 v5, v0
	;; [unrolled: 1-line block ×3, first 2 shown]
	s_waitcnt vmcnt(0)
	v_pk_mul_f32 v[8:9], v[4:5], v[10:11] op_sel:[0,1]
	s_nop 0
	v_pk_add_f32 v[12:13], v[6:7], v[8:9] op_sel:[0,1] op_sel_hi:[1,0]
	v_mov_b32_e32 v7, v8
	v_mov_b32_e32 v0, v9
	v_pk_fma_f32 v[8:9], v[10:11], v[4:5], v[12:13] neg_lo:[1,0,0] neg_hi:[1,0,0]
	v_pk_fma_f32 v[12:13], v[10:11], v[4:5], v[12:13] op_sel_hi:[0,1,1]
	v_pk_add_f32 v[0:1], v[6:7], v[0:1] neg_lo:[0,1] neg_hi:[0,1]
	v_mov_b32_e32 v9, v13
	v_pk_fma_f32 v[0:1], v[10:11], v[4:5], v[0:1] op_sel_hi:[0,1,1]
	ds_write_b64 v42, v[8:9] offset:2112
	ds_write_b64 v2, v[0:1] offset:3520
	s_waitcnt lgkmcnt(0)
	s_barrier
	s_barrier
	ds_read2_b64 v[0:3], v33 offset0:8 offset1:96
	ds_read2_b64 v[4:7], v44 offset0:88 offset1:176
	;; [unrolled: 1-line block ×3, first 2 shown]
	ds_read_b64 v[12:13], v42
	ds_read_b64 v[14:15], v44 offset:4928
	s_waitcnt lgkmcnt(0)
	s_barrier
	v_pk_add_f32 v[8:9], v[4:5], v[8:9] neg_lo:[0,1] neg_hi:[0,1]
	v_pk_add_f32 v[2:3], v[12:13], v[2:3] neg_lo:[0,1] neg_hi:[0,1]
	;; [unrolled: 1-line block ×4, first 2 shown]
	v_pk_fma_f32 v[12:13], v[12:13], 2.0, v[2:3] op_sel_hi:[1,0,1] neg_lo:[0,0,1] neg_hi:[0,0,1]
	v_pk_fma_f32 v[4:5], v[4:5], 2.0, v[8:9] op_sel_hi:[1,0,1] neg_lo:[0,0,1] neg_hi:[0,0,1]
	;; [unrolled: 1-line block ×4, first 2 shown]
	ds_write2_b64 v31, v[12:13], v[2:3] offset1:1
	ds_write2_b64 v34, v[4:5], v[8:9] offset1:1
	;; [unrolled: 1-line block ×4, first 2 shown]
	s_waitcnt lgkmcnt(0)
	s_barrier
	global_load_dwordx2 v[12:13], v17, s[8:9]
	v_and_or_b32 v0, v46, s4, v29
	v_lshlrev_b32_e32 v0, 3, v0
	v_and_or_b32 v1, v47, s5, v29
	v_and_or_b32 v2, v48, s10, v29
	;; [unrolled: 1-line block ×3, first 2 shown]
	v_add3_u32 v50, 0, v0, v32
	v_lshlrev_b32_e32 v0, 3, v1
	v_lshlrev_b32_e32 v1, 3, v2
	;; [unrolled: 1-line block ×3, first 2 shown]
	v_add3_u32 v51, 0, v0, v32
	v_add3_u32 v52, 0, v1, v32
	;; [unrolled: 1-line block ×3, first 2 shown]
	ds_read2_b64 v[0:3], v33 offset0:8 offset1:96
	ds_read2_b64 v[4:7], v44 offset0:88 offset1:176
	ds_read_b64 v[14:15], v42
	ds_read_b64 v[16:17], v44 offset:4928
	ds_read2_b64 v[8:11], v35 offset0:56 offset1:144
	s_waitcnt lgkmcnt(0)
	s_barrier
	s_movk_i32 s4, 0xf8
	s_movk_i32 s5, 0x1f8
	;; [unrolled: 1-line block ×3, first 2 shown]
	s_waitcnt vmcnt(0)
	v_pk_mul_f32 v[18:19], v[12:13], v[16:17] op_sel:[0,1]
	v_pk_mul_f32 v[28:29], v[12:13], v[10:11] op_sel:[0,1]
	;; [unrolled: 1-line block ×4, first 2 shown]
	v_pk_fma_f32 v[36:37], v[12:13], v[16:17], v[18:19] op_sel:[0,0,1] op_sel_hi:[1,1,0] neg_lo:[0,0,1] neg_hi:[0,0,1]
	v_pk_fma_f32 v[16:17], v[12:13], v[16:17], v[18:19] op_sel:[0,0,1] op_sel_hi:[1,0,0]
	v_pk_fma_f32 v[18:19], v[12:13], v[10:11], v[28:29] op_sel:[0,0,1] op_sel_hi:[1,1,0] neg_lo:[0,0,1] neg_hi:[0,0,1]
	v_pk_fma_f32 v[10:11], v[12:13], v[10:11], v[28:29] op_sel:[0,0,1] op_sel_hi:[1,0,0]
	;; [unrolled: 2-line block ×4, first 2 shown]
	v_mov_b32_e32 v37, v17
	v_mov_b32_e32 v31, v3
	;; [unrolled: 1-line block ×4, first 2 shown]
	v_pk_add_f32 v[12:13], v[14:15], v[30:31] neg_lo:[0,1] neg_hi:[0,1]
	v_pk_add_f32 v[2:3], v[0:1], v[36:37] neg_lo:[0,1] neg_hi:[0,1]
	;; [unrolled: 1-line block ×4, first 2 shown]
	v_pk_fma_f32 v[14:15], v[14:15], 2.0, v[12:13] op_sel_hi:[1,0,1] neg_lo:[0,0,1] neg_hi:[0,0,1]
	v_pk_fma_f32 v[0:1], v[0:1], 2.0, v[2:3] op_sel_hi:[1,0,1] neg_lo:[0,0,1] neg_hi:[0,0,1]
	;; [unrolled: 1-line block ×4, first 2 shown]
	ds_write2_b64 v50, v[14:15], v[12:13] offset1:2
	ds_write2_b64 v51, v[4:5], v[10:11] offset1:2
	;; [unrolled: 1-line block ×4, first 2 shown]
	s_waitcnt lgkmcnt(0)
	s_barrier
	global_load_dwordx2 v[12:13], v39, s[8:9] offset:16
	v_and_or_b32 v0, v46, s4, v38
	v_lshlrev_b32_e32 v0, 3, v0
	v_and_or_b32 v1, v47, s5, v38
	v_and_or_b32 v2, v48, s10, v38
	;; [unrolled: 1-line block ×3, first 2 shown]
	v_add3_u32 v54, 0, v0, v32
	v_lshlrev_b32_e32 v0, 3, v1
	v_lshlrev_b32_e32 v1, 3, v2
	;; [unrolled: 1-line block ×3, first 2 shown]
	v_add_u32_e32 v52, 0x400, v44
	v_add_u32_e32 v53, 0x1000, v44
	v_add3_u32 v55, 0, v0, v32
	v_add3_u32 v56, 0, v1, v32
	;; [unrolled: 1-line block ×3, first 2 shown]
	ds_read2_b64 v[0:3], v33 offset0:96 offset1:184
	ds_read_b64 v[14:15], v42
	ds_read_b64 v[16:17], v44 offset:704
	ds_read_b32 v19, v44 offset:708
	ds_read2_b64 v[4:7], v52 offset0:48 offset1:136
	ds_read2_b64 v[8:11], v53 offset0:16 offset1:104
	v_and_b32_e32 v50, 7, v24
	v_lshlrev_b32_e32 v51, 3, v50
	s_waitcnt lgkmcnt(3)
	v_mov_b32_e32 v18, v16
	s_waitcnt lgkmcnt(0)
	s_barrier
	s_movk_i32 s4, 0xf0
	s_movk_i32 s5, 0x1f0
	;; [unrolled: 1-line block ×3, first 2 shown]
	s_waitcnt vmcnt(0)
	v_pk_mul_f32 v[28:29], v[12:13], v[10:11] op_sel:[0,1]
	v_pk_mul_f32 v[30:31], v[12:13], v[8:9] op_sel:[0,1]
	;; [unrolled: 1-line block ×4, first 2 shown]
	v_pk_fma_f32 v[38:39], v[12:13], v[10:11], v[28:29] op_sel:[0,0,1] op_sel_hi:[1,1,0] neg_lo:[0,0,1] neg_hi:[0,0,1]
	v_pk_fma_f32 v[10:11], v[12:13], v[10:11], v[28:29] op_sel:[0,0,1] op_sel_hi:[1,0,0]
	v_pk_fma_f32 v[28:29], v[12:13], v[8:9], v[30:31] op_sel:[0,0,1] op_sel_hi:[1,1,0] neg_lo:[0,0,1] neg_hi:[0,0,1]
	v_pk_fma_f32 v[8:9], v[12:13], v[8:9], v[30:31] op_sel:[0,0,1] op_sel_hi:[1,0,0]
	;; [unrolled: 2-line block ×4, first 2 shown]
	v_mov_b32_e32 v31, v1
	v_mov_b32_e32 v39, v11
	;; [unrolled: 1-line block ×4, first 2 shown]
	v_pk_add_f32 v[8:9], v[14:15], v[30:31] neg_lo:[0,1] neg_hi:[0,1]
	v_pk_add_f32 v[0:1], v[6:7], v[38:39] neg_lo:[0,1] neg_hi:[0,1]
	;; [unrolled: 1-line block ×4, first 2 shown]
	v_pk_fma_f32 v[12:13], v[14:15], 2.0, v[8:9] op_sel_hi:[1,0,1] neg_lo:[0,0,1] neg_hi:[0,0,1]
	v_pk_fma_f32 v[6:7], v[6:7], 2.0, v[0:1] op_sel_hi:[1,0,1] neg_lo:[0,0,1] neg_hi:[0,0,1]
	;; [unrolled: 1-line block ×4, first 2 shown]
	ds_write2_b64 v54, v[12:13], v[8:9] offset1:4
	ds_write2_b64 v55, v[14:15], v[10:11] offset1:4
	;; [unrolled: 1-line block ×4, first 2 shown]
	s_waitcnt lgkmcnt(0)
	s_barrier
	global_load_dwordx2 v[8:9], v51, s[8:9] offset:48
	v_and_or_b32 v0, v46, s4, v50
	v_lshlrev_b32_e32 v0, 3, v0
	v_and_or_b32 v1, v47, s5, v50
	v_and_or_b32 v2, v48, s10, v50
	;; [unrolled: 1-line block ×3, first 2 shown]
	v_add3_u32 v46, 0, v0, v32
	v_lshlrev_b32_e32 v0, 3, v1
	v_lshlrev_b32_e32 v1, 3, v2
	;; [unrolled: 1-line block ×3, first 2 shown]
	v_add3_u32 v47, 0, v0, v32
	v_add3_u32 v48, 0, v1, v32
	;; [unrolled: 1-line block ×3, first 2 shown]
	ds_read2_b64 v[0:3], v33 offset0:96 offset1:184
	ds_read_b64 v[18:19], v42
	ds_read_b64 v[34:35], v44 offset:704
	ds_read_b32 v33, v44 offset:708
	ds_read2_b64 v[14:17], v52 offset0:48 offset1:136
	ds_read2_b64 v[4:7], v53 offset0:16 offset1:104
	s_waitcnt lgkmcnt(5)
	v_mov_b32_e32 v10, v1
	s_waitcnt lgkmcnt(0)
	s_barrier
	s_waitcnt vmcnt(0)
	v_pk_mul_f32 v[12:13], v[8:9], v[0:1] op_sel_hi:[1,0]
	v_pk_mul_f32 v[28:29], v[8:9], v[6:7] op_sel:[0,1]
	v_pk_mul_f32 v[30:31], v[8:9], v[4:5] op_sel:[0,1]
	;; [unrolled: 1-line block ×3, first 2 shown]
	v_pk_fma_f32 v[10:11], v[8:9], v[10:11], v[12:13] op_sel:[0,0,1] op_sel_hi:[1,1,0]
	v_pk_fma_f32 v[0:1], v[8:9], v[0:1], v[12:13] op_sel:[0,1,1] op_sel_hi:[1,1,0] neg_lo:[1,0,0] neg_hi:[1,0,0]
	v_pk_fma_f32 v[12:13], v[8:9], v[6:7], v[28:29] op_sel:[0,0,1] op_sel_hi:[1,1,0] neg_lo:[0,0,1] neg_hi:[0,0,1]
	v_pk_fma_f32 v[6:7], v[8:9], v[6:7], v[28:29] op_sel:[0,0,1] op_sel_hi:[1,0,0]
	v_pk_fma_f32 v[38:39], v[8:9], v[4:5], v[30:31] op_sel:[0,0,1] op_sel_hi:[1,1,0] neg_lo:[0,0,1] neg_hi:[0,0,1]
	v_pk_fma_f32 v[4:5], v[8:9], v[4:5], v[30:31] op_sel:[0,0,1] op_sel_hi:[1,0,0]
	v_pk_fma_f32 v[30:31], v[8:9], v[2:3], v[36:37] op_sel:[0,0,1] op_sel_hi:[1,1,0] neg_lo:[0,0,1] neg_hi:[0,0,1]
	v_pk_fma_f32 v[2:3], v[8:9], v[2:3], v[36:37] op_sel:[0,0,1] op_sel_hi:[1,0,0]
	v_mov_b32_e32 v11, v1
	v_mov_b32_e32 v13, v7
	;; [unrolled: 1-line block ×4, first 2 shown]
	v_pk_add_f32 v[28:29], v[18:19], v[10:11] op_sel:[1,0] op_sel_hi:[0,1] neg_lo:[0,1] neg_hi:[0,1]
	v_pk_add_f32 v[12:13], v[16:17], v[12:13] neg_lo:[0,1] neg_hi:[0,1]
	v_pk_add_f32 v[4:5], v[14:15], v[38:39] neg_lo:[0,1] neg_hi:[0,1]
	;; [unrolled: 1-line block ×3, first 2 shown]
	v_mov_b32_e32 v35, v33
	v_pk_fma_f32 v[30:31], v[18:19], 2.0, v[28:29] op_sel:[1,0,0] op_sel_hi:[0,0,1] neg_lo:[0,0,1] neg_hi:[0,0,1]
	v_pk_fma_f32 v[6:7], v[16:17], 2.0, v[12:13] op_sel_hi:[1,0,1] neg_lo:[0,0,1] neg_hi:[0,0,1]
	v_pk_fma_f32 v[10:11], v[14:15], 2.0, v[4:5] op_sel_hi:[1,0,1] neg_lo:[0,0,1] neg_hi:[0,0,1]
	v_mov_b32_e32 v0, v29
	v_mov_b32_e32 v1, v28
	v_pk_fma_f32 v[2:3], v[34:35], 2.0, v[8:9] op_sel_hi:[1,0,1] neg_lo:[0,0,1] neg_hi:[0,0,1]
	v_mov_b32_e32 v14, v31
	v_mov_b32_e32 v15, v30
	ds_write2_b64 v46, v[14:15], v[0:1] offset1:8
	ds_write2_b64 v47, v[2:3], v[8:9] offset1:8
	;; [unrolled: 1-line block ×4, first 2 shown]
	s_waitcnt lgkmcnt(0)
	s_barrier
	s_waitcnt lgkmcnt(0)
                                        ; implicit-def: $vgpr18
	s_and_saveexec_b64 s[4:5], vcc
	s_cbranch_execz .LBB0_21
; %bb.20:
	ds_read_b64 v[34:35], v42
	ds_read2st64_b64 v[0:3], v44 offset0:1 offset1:2
	ds_read2st64_b64 v[8:11], v44 offset0:3 offset1:4
	;; [unrolled: 1-line block ×5, first 2 shown]
	s_waitcnt lgkmcnt(4)
	v_mov_b32_e32 v28, v1
	v_mov_b32_e32 v29, v0
	;; [unrolled: 1-line block ×4, first 2 shown]
.LBB0_21:
	s_or_b64 exec, exec, s[4:5]
	s_waitcnt lgkmcnt(0)
	s_barrier
	s_and_saveexec_b64 s[4:5], vcc
	s_cbranch_execz .LBB0_23
; %bb.22:
	v_and_b32_e32 v33, 15, v24
	v_mul_u32_u24_e32 v0, 10, v33
	v_lshlrev_b32_e32 v0, 3, v0
	global_load_dwordx4 v[34:37], v0, s[8:9] offset:176
	global_load_dwordx4 v[46:49], v0, s[8:9] offset:128
	;; [unrolled: 1-line block ×5, first 2 shown]
	v_mov_b32_e32 v64, v3
	v_lshrrev_b32_e32 v3, 4, v24
	v_mul_u32_u24_e32 v3, 0xb0, v3
	v_or_b32_e32 v3, v3, v33
	v_mov_b32_e32 v1, v30
	v_mov_b32_e32 v30, v19
	;; [unrolled: 1-line block ×9, first 2 shown]
	v_lshlrev_b32_e32 v3, 3, v3
	v_mov_b32_e32 v0, v31
	v_add3_u32 v132, 0, v3, v32
	v_mov_b32_e32 v38, v29
	s_mov_b32 s20, 0x3f575c64
	s_mov_b32 s21, 0xbf0a6770
	;; [unrolled: 1-line block ×32, first 2 shown]
	s_waitcnt vmcnt(4)
	v_pk_mul_f32 v[30:31], v[30:31], v[36:37] op_sel_hi:[0,1]
	v_pk_mul_f32 v[32:33], v[62:63], v[34:35] op_sel_hi:[0,1]
	s_waitcnt vmcnt(3)
	v_pk_mul_f32 v[62:63], v[66:67], v[46:47] op_sel_hi:[0,1]
	v_pk_mul_f32 v[66:67], v[68:69], v[48:49] op_sel_hi:[0,1]
	s_waitcnt vmcnt(2)
	v_pk_mul_f32 v[68:69], v[70:71], v[52:53] op_sel_hi:[0,1]
	v_pk_mul_f32 v[70:71], v[72:73], v[50:51] op_sel_hi:[0,1]
	s_waitcnt vmcnt(1)
	v_pk_mul_f32 v[72:73], v[74:75], v[56:57] op_sel_hi:[0,1]
	v_pk_mul_f32 v[74:75], v[76:77], v[54:55] op_sel_hi:[0,1]
	s_waitcnt vmcnt(0)
	v_pk_mul_f32 v[76:77], v[28:29], v[58:59]
	v_pk_fma_f32 v[78:79], v[18:19], v[36:37], v[30:31] op_sel:[0,0,1] op_sel_hi:[0,1,0] neg_lo:[0,0,1] neg_hi:[0,0,1]
	v_mov_b32_e32 v76, v59
	v_pk_fma_f32 v[18:19], v[18:19], v[36:37], v[30:31] op_sel:[0,0,1] op_sel_hi:[0,1,0]
	v_pk_fma_f32 v[30:31], v[16:17], v[34:35], v[32:33] op_sel:[0,0,1] op_sel_hi:[1,1,0] neg_lo:[0,0,1] neg_hi:[0,0,1]
	v_pk_fma_f32 v[16:17], v[16:17], v[34:35], v[32:33] op_sel:[0,0,1] op_sel_hi:[0,1,0]
	v_pk_fma_f32 v[34:35], v[10:11], v[48:49], v[66:67] op_sel:[0,0,1] op_sel_hi:[1,1,0] neg_lo:[0,0,1] neg_hi:[0,0,1]
	;; [unrolled: 2-line block ×4, first 2 shown]
	v_pk_fma_f32 v[14:15], v[14:15], v[52:53], v[68:69] op_sel:[0,0,1] op_sel_hi:[0,1,0]
	v_mov_b32_e32 v4, v77
	v_pk_mul_f32 v[52:53], v[28:29], v[76:77]
	v_pk_mul_f32 v[64:65], v[64:65], v[60:61] op_sel_hi:[0,1]
	v_pk_fma_f32 v[32:33], v[8:9], v[46:47], v[62:63] op_sel:[0,0,1] op_sel_hi:[1,1,0] neg_lo:[0,0,1] neg_hi:[0,0,1]
	v_pk_fma_f32 v[8:9], v[8:9], v[46:47], v[62:63] op_sel:[0,0,1] op_sel_hi:[0,1,0]
	v_pk_fma_f32 v[46:47], v[12:13], v[50:51], v[70:71] op_sel:[0,0,1] op_sel_hi:[1,1,0] neg_lo:[0,0,1] neg_hi:[0,0,1]
	v_pk_fma_f32 v[12:13], v[12:13], v[50:51], v[70:71] op_sel:[0,0,1] op_sel_hi:[0,1,0]
	v_pk_fma_f32 v[28:29], v[28:29], v[58:59], v[4:5]
	v_pk_fma_f32 v[38:39], v[38:39], v[58:59], v[52:53] neg_lo:[0,0,1] neg_hi:[0,0,1]
	v_pk_fma_f32 v[54:55], v[2:3], v[60:61], v[64:65] op_sel:[0,0,1] op_sel_hi:[1,1,0] neg_lo:[0,0,1] neg_hi:[0,0,1]
	v_pk_fma_f32 v[2:3], v[2:3], v[60:61], v[64:65] op_sel:[0,0,1] op_sel_hi:[0,1,0]
	v_mov_b32_e32 v47, v13
	v_pk_add_f32 v[12:13], v[38:39], v[78:79] neg_lo:[0,1] neg_hi:[0,1]
	v_pk_add_f32 v[64:65], v[38:39], v[78:79]
	v_mov_b32_e32 v39, v28
	v_mov_b32_e32 v55, v3
	;; [unrolled: 1-line block ×3, first 2 shown]
	v_pk_add_f32 v[14:15], v[0:1], v[38:39]
	v_mov_b32_e32 v33, v9
	v_pk_add_f32 v[14:15], v[14:15], v[54:55]
	v_mov_b32_e32 v35, v11
	v_pk_add_f32 v[14:15], v[14:15], v[32:33]
	v_pk_fma_f32 v[50:51], v[6:7], v[56:57], v[72:73] op_sel:[0,0,1] op_sel_hi:[1,1,0] neg_lo:[0,0,1] neg_hi:[0,0,1]
	v_pk_fma_f32 v[6:7], v[6:7], v[56:57], v[72:73] op_sel:[0,0,1] op_sel_hi:[0,1,0]
	v_mov_b32_e32 v49, v5
	v_pk_add_f32 v[14:15], v[14:15], v[34:35]
	v_mov_b32_e32 v51, v7
	v_pk_add_f32 v[14:15], v[14:15], v[48:49]
	;; [unrolled: 2-line block ×4, first 2 shown]
	v_mov_b32_e32 v31, v17
	v_pk_add_f32 v[66:67], v[28:29], v[10:11] neg_lo:[0,1] neg_hi:[0,1]
	v_pk_add_f32 v[10:11], v[10:11], v[18:19]
	v_mov_b32_e32 v65, v12
	v_pk_add_f32 v[14:15], v[14:15], v[36:37]
	v_mov_b32_e32 v52, v78
	v_mov_b32_e32 v53, v19
	v_pk_mul_f32 v[12:13], v[64:65], s[20:21]
	v_pk_add_f32 v[14:15], v[14:15], v[30:31]
	v_mov_b32_e32 v10, v66
	v_pk_add_f32 v[8:9], v[54:55], v[30:31]
	v_pk_add_f32 v[56:57], v[54:55], v[30:31] neg_lo:[0,1] neg_hi:[0,1]
	v_pk_add_f32 v[4:5], v[34:35], v[46:47]
	v_pk_add_f32 v[60:61], v[34:35], v[46:47] neg_lo:[0,1] neg_hi:[0,1]
	v_pk_add_f32 v[46:47], v[14:15], v[52:53]
	v_pk_fma_f32 v[16:17], v[66:67], s[10:11], v[12:13] neg_lo:[1,0,0] neg_hi:[1,0,0]
	v_pk_fma_f32 v[14:15], v[10:11], s[10:11], v[12:13]
	v_pk_add_f32 v[2:3], v[48:49], v[50:51]
	v_pk_add_f32 v[62:63], v[48:49], v[50:51] neg_lo:[0,1] neg_hi:[0,1]
	v_mov_b32_e32 v17, v15
	v_mov_b32_e32 v48, v8
	;; [unrolled: 1-line block ×3, first 2 shown]
	v_pk_add_f32 v[28:29], v[0:1], v[16:17]
	v_pk_mul_f32 v[16:17], v[48:49], s[24:25]
	v_mov_b32_e32 v8, v57
	v_pk_add_f32 v[6:7], v[32:33], v[36:37]
	v_pk_add_f32 v[58:59], v[32:33], v[36:37] neg_lo:[0,1] neg_hi:[0,1]
	v_pk_fma_f32 v[30:31], v[8:9], s[12:13], v[16:17] neg_lo:[1,0,0] neg_hi:[1,0,0]
	v_pk_fma_f32 v[18:19], v[8:9], s[12:13], v[16:17]
	v_mov_b32_e32 v50, v6
	v_mov_b32_e32 v31, v19
	v_mov_b32_e32 v51, v58
	v_pk_add_f32 v[32:33], v[30:31], v[28:29]
	v_pk_mul_f32 v[28:29], v[50:51], s[28:29]
	v_mov_b32_e32 v6, v59
	v_pk_fma_f32 v[34:35], v[6:7], s[14:15], v[28:29] neg_lo:[1,0,0] neg_hi:[1,0,0]
	v_pk_fma_f32 v[30:31], v[6:7], s[14:15], v[28:29]
	v_mov_b32_e32 v52, v4
	v_mov_b32_e32 v35, v31
	v_mov_b32_e32 v53, v60
	v_pk_add_f32 v[36:37], v[34:35], v[32:33]
	v_pk_mul_f32 v[32:33], v[52:53], s[34:35]
	v_mov_b32_e32 v4, v61
	;; [unrolled: 8-line block ×3, first 2 shown]
	v_pk_fma_f32 v[58:59], v[2:3], s[18:19], v[36:37] neg_lo:[1,0,0] neg_hi:[1,0,0]
	v_pk_fma_f32 v[38:39], v[2:3], s[18:19], v[36:37]
	v_pk_mul_f32 v[60:61], v[48:49], s[34:35]
	v_mov_b32_e32 v59, v39
	v_pk_add_f32 v[54:55], v[58:59], v[54:55]
	ds_write2_b64 v132, v[46:47], v[54:55] offset1:16
	v_pk_mul_f32 v[46:47], v[64:65], s[24:25]
	v_pk_fma_f32 v[62:63], v[8:9], s[16:17], v[60:61] neg_lo:[1,0,0] neg_hi:[1,0,0]
	v_pk_fma_f32 v[54:55], v[66:67], s[12:13], v[46:47] neg_lo:[1,0,0] neg_hi:[1,0,0]
	v_pk_fma_f32 v[58:59], v[10:11], s[12:13], v[46:47]
	v_pk_fma_f32 v[68:69], v[8:9], s[16:17], v[60:61]
	v_mov_b32_e32 v55, v59
	v_pk_add_f32 v[54:55], v[0:1], v[54:55]
	v_mov_b32_e32 v63, v69
	v_pk_add_f32 v[54:55], v[62:63], v[54:55]
	v_pk_mul_f32 v[62:63], v[50:51], s[36:37]
	v_pk_mul_f32 v[86:87], v[48:49], s[36:37]
	v_pk_fma_f32 v[70:71], v[6:7], s[22:23], v[62:63] neg_lo:[1,0,0] neg_hi:[1,0,0]
	v_pk_fma_f32 v[72:73], v[6:7], s[22:23], v[62:63]
	v_pk_fma_f32 v[88:89], v[8:9], s[22:23], v[86:87] neg_lo:[1,0,0] neg_hi:[1,0,0]
	v_mov_b32_e32 v71, v73
	v_pk_add_f32 v[54:55], v[70:71], v[54:55]
	v_pk_mul_f32 v[70:71], v[52:53], s[40:41]
	v_pk_fma_f32 v[90:91], v[8:9], s[22:23], v[86:87]
	v_pk_fma_f32 v[74:75], v[4:5], s[26:27], v[70:71] neg_lo:[1,0,0] neg_hi:[1,0,0]
	v_pk_fma_f32 v[76:77], v[4:5], s[26:27], v[70:71]
	v_mov_b32_e32 v89, v91
	v_mov_b32_e32 v75, v77
	v_pk_add_f32 v[54:55], v[74:75], v[54:55]
	v_pk_mul_f32 v[74:75], v[56:57], s[42:43]
	s_mov_b32 s25, 0x3f68dda4
	v_pk_fma_f32 v[78:79], v[2:3], s[30:31], v[74:75] neg_lo:[1,0,0] neg_hi:[1,0,0]
	v_pk_fma_f32 v[80:81], v[2:3], s[30:31], v[74:75]
	s_mov_b32 s36, s25
	v_mov_b32_e32 v79, v81
	v_pk_add_f32 v[54:55], v[78:79], v[54:55]
	v_pk_mul_f32 v[78:79], v[64:65], s[28:29]
	s_mov_b32 s37, s24
	v_pk_fma_f32 v[82:83], v[66:67], s[14:15], v[78:79] neg_lo:[1,0,0] neg_hi:[1,0,0]
	v_pk_fma_f32 v[84:85], v[10:11], s[14:15], v[78:79]
	v_pk_mul_f32 v[104:105], v[48:49], s[40:41]
	v_mov_b32_e32 v83, v85
	v_pk_add_f32 v[82:83], v[0:1], v[82:83]
	v_pk_fma_f32 v[106:107], v[8:9], s[26:27], v[104:105] neg_lo:[1,0,0] neg_hi:[1,0,0]
	v_pk_add_f32 v[82:83], v[88:89], v[82:83]
	v_pk_mul_f32 v[88:89], v[50:51], s[24:25]
	v_pk_fma_f32 v[108:109], v[8:9], s[26:27], v[104:105]
	v_pk_fma_f32 v[92:93], v[6:7], s[36:37], v[88:89] neg_lo:[1,0,0] neg_hi:[1,0,0]
	v_pk_fma_f32 v[94:95], v[6:7], s[36:37], v[88:89]
	v_mov_b32_e32 v107, v109
	v_mov_b32_e32 v93, v95
	v_pk_add_f32 v[82:83], v[92:93], v[82:83]
	v_pk_mul_f32 v[92:93], v[52:53], s[20:21]
	v_pk_mul_f32 v[48:49], v[48:49], s[42:43]
	v_pk_fma_f32 v[96:97], v[4:5], s[10:11], v[92:93] neg_lo:[1,0,0] neg_hi:[1,0,0]
	v_pk_fma_f32 v[98:99], v[4:5], s[10:11], v[92:93]
	v_pk_fma_f32 v[122:123], v[8:9], s[30:31], v[48:49] neg_lo:[1,0,0] neg_hi:[1,0,0]
	v_mov_b32_e32 v97, v99
	v_pk_add_f32 v[82:83], v[96:97], v[82:83]
	v_pk_mul_f32 v[96:97], v[56:57], s[34:35]
	v_pk_fma_f32 v[124:125], v[8:9], s[30:31], v[48:49]
	v_pk_fma_f32 v[100:101], v[2:3], s[16:17], v[96:97] neg_lo:[1,0,0] neg_hi:[1,0,0]
	v_pk_fma_f32 v[102:103], v[2:3], s[16:17], v[96:97]
	v_mov_b32_e32 v123, v125
	v_mov_b32_e32 v101, v103
	v_pk_add_f32 v[82:83], v[100:101], v[82:83]
	ds_write2_b64 v132, v[54:55], v[82:83] offset0:32 offset1:48
	v_pk_mul_f32 v[54:55], v[64:65], s[34:35]
	v_pk_mul_f32 v[64:65], v[64:65], s[38:39]
	v_pk_fma_f32 v[82:83], v[66:67], s[16:17], v[54:55] neg_lo:[1,0,0] neg_hi:[1,0,0]
	v_pk_fma_f32 v[100:101], v[10:11], s[16:17], v[54:55]
	v_pk_fma_f32 v[66:67], v[66:67], s[18:19], v[64:65] neg_lo:[1,0,0] neg_hi:[1,0,0]
	v_mov_b32_e32 v83, v101
	v_pk_add_f32 v[82:83], v[0:1], v[82:83]
	v_pk_fma_f32 v[48:49], v[8:9], s[30:31], v[48:49] neg_lo:[0,0,1] neg_hi:[0,0,1]
	v_pk_add_f32 v[82:83], v[106:107], v[82:83]
	v_pk_mul_f32 v[106:107], v[50:51], s[20:21]
	v_pk_mul_f32 v[50:51], v[50:51], s[34:35]
	v_pk_fma_f32 v[110:111], v[6:7], s[10:11], v[106:107] neg_lo:[1,0,0] neg_hi:[1,0,0]
	v_pk_fma_f32 v[112:113], v[6:7], s[10:11], v[106:107]
	v_pk_fma_f32 v[126:127], v[6:7], s[16:17], v[50:51]
	v_mov_b32_e32 v111, v113
	v_pk_add_f32 v[82:83], v[110:111], v[82:83]
	v_pk_mul_f32 v[110:111], v[52:53], s[38:39]
	v_pk_mul_f32 v[52:53], v[52:53], s[24:25]
	v_pk_fma_f32 v[114:115], v[4:5], s[18:19], v[110:111] neg_lo:[1,0,0] neg_hi:[1,0,0]
	v_pk_fma_f32 v[116:117], v[4:5], s[18:19], v[110:111]
	v_pk_fma_f32 v[128:129], v[4:5], s[36:37], v[52:53]
	v_mov_b32_e32 v115, v117
	;; [unrolled: 7-line block ×3, first 2 shown]
	v_pk_add_f32 v[82:83], v[118:119], v[82:83]
	v_pk_fma_f32 v[118:119], v[10:11], s[18:19], v[64:65]
	v_pk_fma_f32 v[64:65], v[10:11], s[18:19], v[64:65] neg_lo:[0,0,1] neg_hi:[0,0,1]
	v_mov_b32_e32 v67, v119
	v_pk_add_f32 v[66:67], v[0:1], v[66:67]
	v_mov_b32_e32 v119, v65
	v_pk_add_f32 v[66:67], v[122:123], v[66:67]
	v_pk_fma_f32 v[122:123], v[6:7], s[16:17], v[50:51] neg_lo:[1,0,0] neg_hi:[1,0,0]
	v_pk_fma_f32 v[50:51], v[6:7], s[16:17], v[50:51] neg_lo:[0,0,1] neg_hi:[0,0,1]
	v_mov_b32_e32 v123, v127
	v_pk_add_f32 v[66:67], v[122:123], v[66:67]
	v_pk_fma_f32 v[122:123], v[4:5], s[36:37], v[52:53] neg_lo:[1,0,0] neg_hi:[1,0,0]
	v_mov_b32_e32 v127, v51
	v_mov_b32_e32 v123, v129
	v_pk_fma_f32 v[50:51], v[4:5], s[36:37], v[52:53] neg_lo:[0,0,1] neg_hi:[0,0,1]
	v_pk_add_f32 v[66:67], v[122:123], v[66:67]
	v_pk_fma_f32 v[122:123], v[2:3], s[14:15], v[56:57] neg_lo:[1,0,0] neg_hi:[1,0,0]
	v_mov_b32_e32 v129, v51
	v_pk_fma_f32 v[50:51], v[2:3], s[14:15], v[56:57] neg_lo:[0,0,1] neg_hi:[0,0,1]
	v_mov_b32_e32 v123, v131
	v_mov_b32_e32 v131, v51
	v_pk_fma_f32 v[50:51], v[10:11], s[16:17], v[54:55] neg_lo:[0,0,1] neg_hi:[0,0,1]
	v_mov_b32_e32 v125, v49
	v_mov_b32_e32 v101, v51
	v_pk_fma_f32 v[50:51], v[8:9], s[26:27], v[104:105] neg_lo:[0,0,1] neg_hi:[0,0,1]
	v_pk_add_f32 v[48:49], v[0:1], v[118:119]
	v_mov_b32_e32 v109, v51
	v_pk_add_f32 v[50:51], v[0:1], v[100:101]
	v_pk_fma_f32 v[52:53], v[6:7], s[10:11], v[106:107] neg_lo:[0,0,1] neg_hi:[0,0,1]
	v_pk_add_f32 v[48:49], v[124:125], v[48:49]
	v_pk_add_f32 v[50:51], v[108:109], v[50:51]
	v_mov_b32_e32 v113, v53
	v_pk_fma_f32 v[52:53], v[4:5], s[18:19], v[110:111] neg_lo:[0,0,1] neg_hi:[0,0,1]
	v_pk_add_f32 v[48:49], v[126:127], v[48:49]
	v_pk_add_f32 v[50:51], v[112:113], v[50:51]
	v_mov_b32_e32 v117, v53
	;; [unrolled: 4-line block ×3, first 2 shown]
	v_pk_add_f32 v[48:49], v[130:131], v[48:49]
	v_pk_add_f32 v[50:51], v[120:121], v[50:51]
	ds_write2_b64 v132, v[48:49], v[50:51] offset0:96 offset1:112
	v_pk_fma_f32 v[50:51], v[6:7], s[36:37], v[88:89] neg_lo:[0,0,1] neg_hi:[0,0,1]
	v_pk_fma_f32 v[48:49], v[10:11], s[14:15], v[78:79] neg_lo:[0,0,1] neg_hi:[0,0,1]
	v_mov_b32_e32 v95, v51
	v_pk_fma_f32 v[50:51], v[4:5], s[10:11], v[92:93] neg_lo:[0,0,1] neg_hi:[0,0,1]
	v_pk_fma_f32 v[46:47], v[10:11], s[12:13], v[46:47] neg_lo:[0,0,1] neg_hi:[0,0,1]
	v_mov_b32_e32 v99, v51
	;; [unrolled: 3-line block ×3, first 2 shown]
	v_pk_fma_f32 v[48:49], v[8:9], s[22:23], v[86:87] neg_lo:[0,0,1] neg_hi:[0,0,1]
	v_mov_b32_e32 v103, v51
	v_mov_b32_e32 v59, v47
	v_pk_fma_f32 v[50:51], v[8:9], s[16:17], v[60:61] neg_lo:[0,0,1] neg_hi:[0,0,1]
	v_mov_b32_e32 v15, v11
	v_pk_fma_f32 v[8:9], v[8:9], s[12:13], v[16:17] neg_lo:[0,0,1] neg_hi:[0,0,1]
	v_mov_b32_e32 v91, v49
	v_pk_add_f32 v[48:49], v[0:1], v[84:85]
	v_pk_add_f32 v[46:47], v[0:1], v[58:59]
	v_mov_b32_e32 v69, v51
	v_pk_fma_f32 v[50:51], v[6:7], s[22:23], v[62:63] neg_lo:[0,0,1] neg_hi:[0,0,1]
	v_pk_add_f32 v[0:1], v[0:1], v[14:15]
	v_mov_b32_e32 v19, v9
	v_pk_fma_f32 v[6:7], v[6:7], s[14:15], v[28:29] neg_lo:[0,0,1] neg_hi:[0,0,1]
	v_pk_add_f32 v[48:49], v[90:91], v[48:49]
	v_pk_add_f32 v[46:47], v[68:69], v[46:47]
	v_mov_b32_e32 v73, v51
	v_pk_fma_f32 v[50:51], v[4:5], s[26:27], v[70:71] neg_lo:[0,0,1] neg_hi:[0,0,1]
	v_pk_add_f32 v[0:1], v[18:19], v[0:1]
	v_mov_b32_e32 v31, v7
	v_pk_fma_f32 v[4:5], v[4:5], s[16:17], v[32:33] neg_lo:[0,0,1] neg_hi:[0,0,1]
	;; [unrolled: 7-line block ×3, first 2 shown]
	v_pk_add_f32 v[48:49], v[98:99], v[48:49]
	v_pk_add_f32 v[46:47], v[76:77], v[46:47]
	v_mov_b32_e32 v81, v51
	v_pk_add_f32 v[0:1], v[34:35], v[0:1]
	v_mov_b32_e32 v39, v3
	v_pk_add_f32 v[66:67], v[122:123], v[66:67]
	v_pk_add_f32 v[48:49], v[102:103], v[48:49]
	;; [unrolled: 1-line block ×4, first 2 shown]
	ds_write2_b64 v132, v[82:83], v[66:67] offset0:64 offset1:80
	ds_write2_b64 v132, v[48:49], v[46:47] offset0:128 offset1:144
	ds_write_b64 v132, v[0:1] offset:1280
.LBB0_23:
	s_or_b64 exec, exec, s[4:5]
	v_lshl_add_u64 v[12:13], v[26:27], 3, s[8:9]
	s_waitcnt lgkmcnt(0)
	s_barrier
	v_lshl_add_u64 v[14:15], v[24:25], 3, s[8:9]
	global_load_dwordx2 v[16:17], v[12:13], off offset:1392
	global_load_dwordx2 v[18:19], v[14:15], off offset:2096
	v_sub_u32_e32 v4, v45, v43
	v_add_u32_e32 v25, 0x800, v44
	ds_read2_b64 v[0:3], v44 offset0:88 offset1:176
	v_add_u32_e32 v43, 0xc00, v44
	ds_read_b64 v[26:27], v42
	ds_read_b64 v[28:29], v44 offset:4928
	v_lshl_add_u32 v41, v41, 3, v4
	ds_read2_b64 v[4:7], v25 offset0:8 offset1:96
	ds_read2_b64 v[8:11], v43 offset0:56 offset1:144
	s_movk_i32 s4, 0x1000
	v_add_co_u32_e32 v30, vcc, s4, v14
	v_add_u32_e32 v45, 0xa00, v44
	s_waitcnt lgkmcnt(0)
	s_barrier
	v_addc_co_u32_e32 v31, vcc, 0, v15, vcc
	v_add_u32_e32 v48, 0xc00, v41
	s_waitcnt vmcnt(1)
	v_pk_mul_f32 v[32:33], v[16:17], v[6:7] op_sel:[0,1]
	s_waitcnt vmcnt(0)
	v_pk_mul_f32 v[34:35], v[18:19], v[8:9] op_sel:[0,1]
	v_pk_mul_f32 v[36:37], v[16:17], v[10:11] op_sel:[0,1]
	;; [unrolled: 1-line block ×3, first 2 shown]
	v_pk_fma_f32 v[46:47], v[16:17], v[6:7], v[32:33] op_sel:[0,0,1] op_sel_hi:[1,1,0] neg_lo:[0,0,1] neg_hi:[0,0,1]
	v_pk_fma_f32 v[6:7], v[16:17], v[6:7], v[32:33] op_sel:[0,0,1] op_sel_hi:[1,0,0]
	v_pk_fma_f32 v[32:33], v[18:19], v[8:9], v[34:35] op_sel:[0,0,1] op_sel_hi:[1,1,0] neg_lo:[0,0,1] neg_hi:[0,0,1]
	v_pk_fma_f32 v[8:9], v[18:19], v[8:9], v[34:35] op_sel:[0,0,1] op_sel_hi:[1,0,0]
	;; [unrolled: 2-line block ×4, first 2 shown]
	v_mov_b32_e32 v47, v7
	v_mov_b32_e32 v33, v9
	v_mov_b32_e32 v35, v11
	v_mov_b32_e32 v17, v19
	v_pk_add_f32 v[6:7], v[26:27], v[46:47] neg_lo:[0,1] neg_hi:[0,1]
	v_pk_add_f32 v[8:9], v[0:1], v[32:33] neg_lo:[0,1] neg_hi:[0,1]
	;; [unrolled: 1-line block ×4, first 2 shown]
	v_pk_fma_f32 v[18:19], v[26:27], 2.0, v[6:7] op_sel_hi:[1,0,1] neg_lo:[0,0,1] neg_hi:[0,0,1]
	v_pk_fma_f32 v[0:1], v[0:1], 2.0, v[8:9] op_sel_hi:[1,0,1] neg_lo:[0,0,1] neg_hi:[0,0,1]
	;; [unrolled: 1-line block ×4, first 2 shown]
	ds_write_b64 v44, v[6:7] offset:1408
	ds_write2_b64 v44, v[18:19], v[0:1] offset1:88
	ds_write_b64 v41, v[8:9] offset:2112
	ds_write2_b64 v45, v[2:3], v[10:11] offset0:32 offset1:208
	ds_write2_b64 v48, v[4:5], v[16:17] offset0:56 offset1:232
	s_waitcnt lgkmcnt(0)
	s_barrier
	global_load_dwordx2 v[16:17], v[12:13], off offset:2800
	global_load_dwordx2 v[18:19], v[14:15], off offset:3504
	;; [unrolled: 1-line block ×4, first 2 shown]
	ds_read2_b64 v[0:3], v25 offset0:8 offset1:96
	ds_read2_b64 v[4:7], v44 offset0:88 offset1:176
	;; [unrolled: 1-line block ×3, first 2 shown]
	ds_read_b64 v[12:13], v42
	ds_read_b64 v[14:15], v44 offset:4928
	s_waitcnt lgkmcnt(0)
	s_barrier
	s_waitcnt vmcnt(3)
	v_pk_mul_f32 v[30:31], v[16:17], v[2:3] op_sel:[0,1]
	s_waitcnt vmcnt(2)
	v_pk_mul_f32 v[32:33], v[18:19], v[8:9] op_sel:[0,1]
	;; [unrolled: 2-line block ×4, first 2 shown]
	v_pk_fma_f32 v[38:39], v[16:17], v[2:3], v[30:31] op_sel:[0,0,1] op_sel_hi:[1,1,0] neg_lo:[0,0,1] neg_hi:[0,0,1]
	v_pk_fma_f32 v[2:3], v[16:17], v[2:3], v[30:31] op_sel:[0,0,1] op_sel_hi:[1,0,0]
	v_pk_fma_f32 v[16:17], v[18:19], v[8:9], v[32:33] op_sel:[0,0,1] op_sel_hi:[1,1,0] neg_lo:[0,0,1] neg_hi:[0,0,1]
	v_pk_fma_f32 v[8:9], v[18:19], v[8:9], v[32:33] op_sel:[0,0,1] op_sel_hi:[1,0,0]
	;; [unrolled: 2-line block ×4, first 2 shown]
	v_mov_b32_e32 v39, v3
	v_mov_b32_e32 v17, v9
	;; [unrolled: 1-line block ×4, first 2 shown]
	v_pk_add_f32 v[2:3], v[12:13], v[38:39] neg_lo:[0,1] neg_hi:[0,1]
	v_pk_add_f32 v[8:9], v[4:5], v[16:17] neg_lo:[0,1] neg_hi:[0,1]
	;; [unrolled: 1-line block ×4, first 2 shown]
	v_pk_fma_f32 v[12:13], v[12:13], 2.0, v[2:3] op_sel_hi:[1,0,1] neg_lo:[0,0,1] neg_hi:[0,0,1]
	v_pk_fma_f32 v[4:5], v[4:5], 2.0, v[8:9] op_sel_hi:[1,0,1] neg_lo:[0,0,1] neg_hi:[0,0,1]
	;; [unrolled: 1-line block ×4, first 2 shown]
	ds_write_b64 v44, v[2:3] offset:2816
	ds_write2_b64 v44, v[12:13], v[4:5] offset1:88
	ds_write_b64 v41, v[8:9] offset:3520
	ds_write_b64 v44, v[6:7] offset:1408
	;; [unrolled: 1-line block ×5, first 2 shown]
	s_waitcnt lgkmcnt(0)
	s_barrier
	s_and_saveexec_b64 s[4:5], s[0:1]
	s_cbranch_execz .LBB0_25
; %bb.24:
	v_mul_lo_u32 v0, s3, v22
	v_mul_lo_u32 v1, s2, v23
	v_mad_u64_u32 v[4:5], s[0:1], s2, v22, 0
	v_lshl_add_u32 v10, v24, 3, v40
	v_add3_u32 v5, v5, v1, v0
	ds_read2_b64 v[0:3], v10 offset1:88
	v_lshl_add_u64 v[4:5], v[4:5], 3, s[6:7]
	v_mov_b32_e32 v25, 0
	v_lshl_add_u64 v[8:9], v[20:21], 3, v[4:5]
	v_lshl_add_u64 v[4:5], v[24:25], 3, v[8:9]
	s_waitcnt lgkmcnt(0)
	global_store_dwordx2 v[4:5], v[0:1], off
	v_add_u32_e32 v4, 0x400, v10
	ds_read2_b64 v[4:7], v4 offset0:48 offset1:136
	v_add_u32_e32 v0, 0x58, v24
	v_mov_b32_e32 v1, v25
	v_lshl_add_u64 v[0:1], v[0:1], 3, v[8:9]
	global_store_dwordx2 v[0:1], v[2:3], off
	v_add_u32_e32 v0, 0xb0, v24
	v_mov_b32_e32 v1, v25
	v_lshl_add_u64 v[0:1], v[0:1], 3, v[8:9]
	s_waitcnt lgkmcnt(0)
	global_store_dwordx2 v[0:1], v[4:5], off
	v_add_u32_e32 v0, 0x108, v24
	v_mov_b32_e32 v1, v25
	v_lshl_add_u64 v[4:5], v[0:1], 3, v[8:9]
	v_add_u32_e32 v0, 0x800, v10
	ds_read2_b64 v[0:3], v0 offset0:96 offset1:184
	global_store_dwordx2 v[4:5], v[6:7], off
	v_add_u32_e32 v4, 0x160, v24
	v_mov_b32_e32 v5, v25
	v_lshl_add_u64 v[4:5], v[4:5], 3, v[8:9]
	s_waitcnt lgkmcnt(0)
	global_store_dwordx2 v[4:5], v[0:1], off
	v_add_u32_e32 v4, 0x1000, v10
	ds_read2_b64 v[4:7], v4 offset0:16 offset1:104
	v_add_u32_e32 v0, 0x1b8, v24
	v_mov_b32_e32 v1, v25
	v_lshl_add_u64 v[0:1], v[0:1], 3, v[8:9]
	global_store_dwordx2 v[0:1], v[2:3], off
	v_add_u32_e32 v0, 0x210, v24
	v_mov_b32_e32 v1, v25
	v_lshl_add_u64 v[0:1], v[0:1], 3, v[8:9]
	v_add_u32_e32 v24, 0x268, v24
	s_waitcnt lgkmcnt(0)
	global_store_dwordx2 v[0:1], v[4:5], off
	v_lshl_add_u64 v[0:1], v[24:25], 3, v[8:9]
	global_store_dwordx2 v[0:1], v[6:7], off
.LBB0_25:
	s_endpgm
	.section	.rodata,"a",@progbits
	.p2align	6, 0x0
	.amdhsa_kernel fft_rtc_fwd_len704_factors_2_2_2_2_11_2_2_wgs_176_tpt_88_halfLds_sp_op_CI_CI_unitstride_sbrr_C2R_dirReg
		.amdhsa_group_segment_fixed_size 0
		.amdhsa_private_segment_fixed_size 0
		.amdhsa_kernarg_size 104
		.amdhsa_user_sgpr_count 2
		.amdhsa_user_sgpr_dispatch_ptr 0
		.amdhsa_user_sgpr_queue_ptr 0
		.amdhsa_user_sgpr_kernarg_segment_ptr 1
		.amdhsa_user_sgpr_dispatch_id 0
		.amdhsa_user_sgpr_kernarg_preload_length 0
		.amdhsa_user_sgpr_kernarg_preload_offset 0
		.amdhsa_user_sgpr_private_segment_size 0
		.amdhsa_uses_dynamic_stack 0
		.amdhsa_enable_private_segment 0
		.amdhsa_system_sgpr_workgroup_id_x 1
		.amdhsa_system_sgpr_workgroup_id_y 0
		.amdhsa_system_sgpr_workgroup_id_z 0
		.amdhsa_system_sgpr_workgroup_info 0
		.amdhsa_system_vgpr_workitem_id 0
		.amdhsa_next_free_vgpr 133
		.amdhsa_next_free_sgpr 44
		.amdhsa_accum_offset 136
		.amdhsa_reserve_vcc 1
		.amdhsa_float_round_mode_32 0
		.amdhsa_float_round_mode_16_64 0
		.amdhsa_float_denorm_mode_32 3
		.amdhsa_float_denorm_mode_16_64 3
		.amdhsa_dx10_clamp 1
		.amdhsa_ieee_mode 1
		.amdhsa_fp16_overflow 0
		.amdhsa_tg_split 0
		.amdhsa_exception_fp_ieee_invalid_op 0
		.amdhsa_exception_fp_denorm_src 0
		.amdhsa_exception_fp_ieee_div_zero 0
		.amdhsa_exception_fp_ieee_overflow 0
		.amdhsa_exception_fp_ieee_underflow 0
		.amdhsa_exception_fp_ieee_inexact 0
		.amdhsa_exception_int_div_zero 0
	.end_amdhsa_kernel
	.text
.Lfunc_end0:
	.size	fft_rtc_fwd_len704_factors_2_2_2_2_11_2_2_wgs_176_tpt_88_halfLds_sp_op_CI_CI_unitstride_sbrr_C2R_dirReg, .Lfunc_end0-fft_rtc_fwd_len704_factors_2_2_2_2_11_2_2_wgs_176_tpt_88_halfLds_sp_op_CI_CI_unitstride_sbrr_C2R_dirReg
                                        ; -- End function
	.section	.AMDGPU.csdata,"",@progbits
; Kernel info:
; codeLenInByte = 7316
; NumSgprs: 50
; NumVgprs: 133
; NumAgprs: 0
; TotalNumVgprs: 133
; ScratchSize: 0
; MemoryBound: 0
; FloatMode: 240
; IeeeMode: 1
; LDSByteSize: 0 bytes/workgroup (compile time only)
; SGPRBlocks: 6
; VGPRBlocks: 16
; NumSGPRsForWavesPerEU: 50
; NumVGPRsForWavesPerEU: 133
; AccumOffset: 136
; Occupancy: 3
; WaveLimiterHint : 1
; COMPUTE_PGM_RSRC2:SCRATCH_EN: 0
; COMPUTE_PGM_RSRC2:USER_SGPR: 2
; COMPUTE_PGM_RSRC2:TRAP_HANDLER: 0
; COMPUTE_PGM_RSRC2:TGID_X_EN: 1
; COMPUTE_PGM_RSRC2:TGID_Y_EN: 0
; COMPUTE_PGM_RSRC2:TGID_Z_EN: 0
; COMPUTE_PGM_RSRC2:TIDIG_COMP_CNT: 0
; COMPUTE_PGM_RSRC3_GFX90A:ACCUM_OFFSET: 33
; COMPUTE_PGM_RSRC3_GFX90A:TG_SPLIT: 0
	.text
	.p2alignl 6, 3212836864
	.fill 256, 4, 3212836864
	.type	__hip_cuid_eb3ab41312585ca8,@object ; @__hip_cuid_eb3ab41312585ca8
	.section	.bss,"aw",@nobits
	.globl	__hip_cuid_eb3ab41312585ca8
__hip_cuid_eb3ab41312585ca8:
	.byte	0                               ; 0x0
	.size	__hip_cuid_eb3ab41312585ca8, 1

	.ident	"AMD clang version 19.0.0git (https://github.com/RadeonOpenCompute/llvm-project roc-6.4.0 25133 c7fe45cf4b819c5991fe208aaa96edf142730f1d)"
	.section	".note.GNU-stack","",@progbits
	.addrsig
	.addrsig_sym __hip_cuid_eb3ab41312585ca8
	.amdgpu_metadata
---
amdhsa.kernels:
  - .agpr_count:     0
    .args:
      - .actual_access:  read_only
        .address_space:  global
        .offset:         0
        .size:           8
        .value_kind:     global_buffer
      - .offset:         8
        .size:           8
        .value_kind:     by_value
      - .actual_access:  read_only
        .address_space:  global
        .offset:         16
        .size:           8
        .value_kind:     global_buffer
      - .actual_access:  read_only
        .address_space:  global
        .offset:         24
        .size:           8
        .value_kind:     global_buffer
      - .actual_access:  read_only
        .address_space:  global
        .offset:         32
        .size:           8
        .value_kind:     global_buffer
      - .offset:         40
        .size:           8
        .value_kind:     by_value
      - .actual_access:  read_only
        .address_space:  global
        .offset:         48
        .size:           8
        .value_kind:     global_buffer
      - .actual_access:  read_only
        .address_space:  global
        .offset:         56
        .size:           8
        .value_kind:     global_buffer
      - .offset:         64
        .size:           4
        .value_kind:     by_value
      - .actual_access:  read_only
        .address_space:  global
        .offset:         72
        .size:           8
        .value_kind:     global_buffer
      - .actual_access:  read_only
        .address_space:  global
        .offset:         80
        .size:           8
        .value_kind:     global_buffer
      - .actual_access:  read_only
        .address_space:  global
        .offset:         88
        .size:           8
        .value_kind:     global_buffer
      - .actual_access:  write_only
        .address_space:  global
        .offset:         96
        .size:           8
        .value_kind:     global_buffer
    .group_segment_fixed_size: 0
    .kernarg_segment_align: 8
    .kernarg_segment_size: 104
    .language:       OpenCL C
    .language_version:
      - 2
      - 0
    .max_flat_workgroup_size: 176
    .name:           fft_rtc_fwd_len704_factors_2_2_2_2_11_2_2_wgs_176_tpt_88_halfLds_sp_op_CI_CI_unitstride_sbrr_C2R_dirReg
    .private_segment_fixed_size: 0
    .sgpr_count:     50
    .sgpr_spill_count: 0
    .symbol:         fft_rtc_fwd_len704_factors_2_2_2_2_11_2_2_wgs_176_tpt_88_halfLds_sp_op_CI_CI_unitstride_sbrr_C2R_dirReg.kd
    .uniform_work_group_size: 1
    .uses_dynamic_stack: false
    .vgpr_count:     133
    .vgpr_spill_count: 0
    .wavefront_size: 64
amdhsa.target:   amdgcn-amd-amdhsa--gfx950
amdhsa.version:
  - 1
  - 2
...

	.end_amdgpu_metadata
